;; amdgpu-corpus repo=ROCm/rocFFT kind=compiled arch=gfx1030 opt=O3
	.text
	.amdgcn_target "amdgcn-amd-amdhsa--gfx1030"
	.amdhsa_code_object_version 6
	.protected	fft_rtc_back_len50_factors_10_5_wgs_125_tpt_5_halfLds_dim1_dp_op_CI_CI_unitstride_sbrr_R2C_dirReg ; -- Begin function fft_rtc_back_len50_factors_10_5_wgs_125_tpt_5_halfLds_dim1_dp_op_CI_CI_unitstride_sbrr_R2C_dirReg
	.globl	fft_rtc_back_len50_factors_10_5_wgs_125_tpt_5_halfLds_dim1_dp_op_CI_CI_unitstride_sbrr_R2C_dirReg
	.p2align	8
	.type	fft_rtc_back_len50_factors_10_5_wgs_125_tpt_5_halfLds_dim1_dp_op_CI_CI_unitstride_sbrr_R2C_dirReg,@function
fft_rtc_back_len50_factors_10_5_wgs_125_tpt_5_halfLds_dim1_dp_op_CI_CI_unitstride_sbrr_R2C_dirReg: ; @fft_rtc_back_len50_factors_10_5_wgs_125_tpt_5_halfLds_dim1_dp_op_CI_CI_unitstride_sbrr_R2C_dirReg
; %bb.0:
	v_mul_u32_u24_e32 v1, 0x3334, v0
	s_load_dwordx2 s[0:1], s[4:5], 0x20
                                        ; implicit-def: $vgpr8
                                        ; implicit-def: $vgpr10
	v_lshrrev_b32_e32 v1, 16, v1
	v_mad_u64_u32 v[12:13], null, s6, 25, v[1:2]
	s_load_dwordx2 s[6:7], s[4:5], 0x0
	v_mov_b32_e32 v13, 0
	v_mul_hi_u32 v2, 0x51eb851f, v12
	s_waitcnt lgkmcnt(0)
	v_cmp_gt_u64_e32 vcc_lo, s[0:1], v[12:13]
	v_cmp_le_u64_e64 s0, s[0:1], v[12:13]
	v_lshrrev_b32_e32 v2, 3, v2
	v_mul_lo_u32 v2, v2, 25
	v_sub_nc_u32_e32 v3, v12, v2
                                        ; implicit-def: $vgpr2
	s_and_saveexec_b32 s1, s0
	s_xor_b32 s0, exec_lo, s1
; %bb.1:
	v_mov_b32_e32 v1, 0x3334
	v_mul_u32_u24_sdwa v1, v0, v1 dst_sel:DWORD dst_unused:UNUSED_PAD src0_sel:WORD_0 src1_sel:DWORD
	v_lshrrev_b32_e32 v1, 16, v1
	v_mul_lo_u16 v1, v1, 5
	v_sub_nc_u16 v2, v0, v1
                                        ; implicit-def: $vgpr1
                                        ; implicit-def: $vgpr0
	v_and_b32_e32 v8, 0xffff, v2
	v_add_nc_u32_e32 v10, 5, v8
; %bb.2:
	s_or_saveexec_b32 s1, s0
	s_load_dwordx2 s[2:3], s[4:5], 0x18
	v_mul_u32_u24_e32 v3, 51, v3
	v_lshlrev_b32_e32 v3, 4, v3
	s_xor_b32 exec_lo, exec_lo, s1
	s_cbranch_execz .LBB0_4
; %bb.3:
	s_clause 0x1
	s_load_dwordx2 s[8:9], s[4:5], 0x10
	s_load_dwordx2 s[10:11], s[4:5], 0x50
	v_mul_lo_u16 v1, v1, 5
	s_waitcnt lgkmcnt(0)
	s_load_dwordx2 s[8:9], s[8:9], 0x8
	s_waitcnt lgkmcnt(0)
	v_mad_u64_u32 v[4:5], null, s8, v12, 0
	v_mov_b32_e32 v2, v5
	v_mad_u64_u32 v[5:6], null, s9, v12, v[2:3]
	v_sub_nc_u16 v2, v0, v1
	v_and_b32_e32 v8, 0xffff, v2
	v_lshlrev_b64 v[0:1], 4, v[4:5]
	v_lshlrev_b32_e32 v9, 4, v8
	v_add_nc_u32_e32 v10, 5, v8
	v_add_co_u32 v0, s0, s10, v0
	v_add_co_ci_u32_e64 v1, s0, s11, v1, s0
	v_add_co_u32 v0, s0, v0, v9
	v_add_co_ci_u32_e64 v1, s0, 0, v1, s0
	s_clause 0x9
	global_load_dwordx4 v[4:7], v[0:1], off
	global_load_dwordx4 v[13:16], v[0:1], off offset:80
	global_load_dwordx4 v[17:20], v[0:1], off offset:160
	;; [unrolled: 1-line block ×9, first 2 shown]
	v_add3_u32 v0, 0, v3, v9
	s_waitcnt vmcnt(9)
	ds_write_b128 v0, v[4:7]
	s_waitcnt vmcnt(8)
	ds_write_b128 v0, v[13:16] offset:80
	s_waitcnt vmcnt(7)
	ds_write_b128 v0, v[17:20] offset:160
	;; [unrolled: 2-line block ×9, first 2 shown]
.LBB0_4:
	s_or_b32 exec_lo, exec_lo, s1
	v_lshlrev_b32_e32 v0, 4, v8
	v_add_nc_u32_e32 v17, 0, v3
	s_waitcnt lgkmcnt(0)
	s_load_dwordx2 s[2:3], s[2:3], 0x8
	s_waitcnt lgkmcnt(0)
	s_barrier
	v_add3_u32 v1, 0, v0, v3
	v_add_nc_u32_e32 v18, v17, v0
	buffer_gl0_inv
	s_mov_b32 s8, 0x134454ff
	s_mov_b32 s9, 0xbfee6f0e
	ds_read_b128 v[3:6], v18
	ds_read_b128 v[13:16], v1 offset:320
	ds_read_b128 v[19:22], v1 offset:160
	;; [unrolled: 1-line block ×9, first 2 shown]
	s_mov_b32 s11, 0x3fee6f0e
	s_mov_b32 s10, s8
	;; [unrolled: 1-line block ×12, first 2 shown]
	s_waitcnt lgkmcnt(7)
	v_add_f64 v[51:52], v[3:4], v[19:20]
	v_add_f64 v[53:54], v[5:6], v[21:22]
	s_waitcnt lgkmcnt(6)
	v_add_f64 v[55:56], v[13:14], v[23:24]
	s_waitcnt lgkmcnt(4)
	;; [unrolled: 2-line block ×3, first 2 shown]
	v_add_f64 v[59:60], v[29:30], v[37:38]
	v_add_f64 v[61:62], v[15:16], v[25:26]
	;; [unrolled: 1-line block ×3, first 2 shown]
	s_waitcnt lgkmcnt(1)
	v_add_f64 v[71:72], v[41:42], v[45:46]
	v_add_f64 v[75:76], v[39:40], v[43:44]
	v_add_f64 v[65:66], v[21:22], -v[33:34]
	v_add_f64 v[67:68], v[19:20], -v[13:14]
	;; [unrolled: 1-line block ×4, first 2 shown]
	v_add_f64 v[77:78], v[27:28], v[35:36]
	v_add_f64 v[21:22], v[15:16], -v[21:22]
	v_add_f64 v[79:80], v[15:16], -v[25:26]
	v_add_f64 v[81:82], v[13:14], -v[23:24]
	v_add_f64 v[83:84], v[31:32], -v[23:24]
	s_waitcnt lgkmcnt(0)
	v_add_f64 v[85:86], v[47:48], v[27:28]
	v_add_f64 v[87:88], v[49:50], v[29:30]
	v_add_f64 v[89:90], v[23:24], -v[31:32]
	v_add_f64 v[91:92], v[29:30], -v[37:38]
	v_add_f64 v[13:14], v[51:52], v[13:14]
	v_add_f64 v[15:16], v[53:54], v[15:16]
	v_add_f64 v[51:52], v[39:40], -v[43:44]
	v_fma_f64 v[55:56], v[55:56], -0.5, v[3:4]
	v_fma_f64 v[53:54], v[59:60], -0.5, v[49:50]
	v_add_f64 v[59:60], v[27:28], -v[39:40]
	v_fma_f64 v[3:4], v[57:58], -0.5, v[3:4]
	v_fma_f64 v[57:58], v[61:62], -0.5, v[5:6]
	v_fma_f64 v[5:6], v[63:64], -0.5, v[5:6]
	v_add_f64 v[61:62], v[27:28], -v[35:36]
	v_fma_f64 v[49:50], v[71:72], -0.5, v[49:50]
	v_add_f64 v[63:64], v[35:36], -v[43:44]
	v_fma_f64 v[71:72], v[75:76], -0.5, v[47:48]
	v_fma_f64 v[47:48], v[77:78], -0.5, v[47:48]
	v_add_f64 v[27:28], v[39:40], -v[27:28]
	v_add_f64 v[75:76], v[29:30], -v[41:42]
	;; [unrolled: 1-line block ×4, first 2 shown]
	v_add_f64 v[39:40], v[85:86], v[39:40]
	v_add_f64 v[85:86], v[87:88], v[41:42]
	v_add_f64 v[41:42], v[41:42], -v[45:46]
	v_add_f64 v[87:88], v[45:46], -v[37:38]
	v_add_f64 v[67:68], v[67:68], v[83:84]
	v_add_f64 v[69:70], v[69:70], v[89:90]
	v_add_f64 v[19:20], v[19:20], -v[31:32]
	v_add_f64 v[13:14], v[13:14], v[23:24]
	v_fma_f64 v[83:84], v[51:52], s[8:9], v[53:54]
	v_fma_f64 v[53:54], v[51:52], s[10:11], v[53:54]
	v_add_f64 v[15:16], v[15:16], v[25:26]
	s_mov_b32 s21, 0xbfe9e377
	s_mov_b32 s20, s0
	v_mad_u32_u24 v7, 0x90, v8, v1
	v_fma_f64 v[89:90], v[61:62], s[10:11], v[49:50]
	v_add_f64 v[59:60], v[59:60], v[63:64]
	v_fma_f64 v[63:64], v[91:92], s[8:9], v[71:72]
	v_fma_f64 v[49:50], v[61:62], s[8:9], v[49:50]
	;; [unrolled: 1-line block ×3, first 2 shown]
	s_barrier
	v_add_f64 v[75:76], v[75:76], v[77:78]
	v_add_f64 v[77:78], v[33:34], -v[25:26]
	v_add_f64 v[23:24], v[39:40], v[43:44]
	buffer_gl0_inv
	v_add_f64 v[29:30], v[29:30], v[87:88]
	v_add_f64 v[87:88], v[43:44], -v[35:36]
	v_add_f64 v[13:14], v[13:14], v[31:32]
	v_fma_f64 v[83:84], v[61:62], s[16:17], v[83:84]
	v_fma_f64 v[53:54], v[61:62], s[14:15], v[53:54]
	;; [unrolled: 1-line block ×4, first 2 shown]
	v_add_f64 v[15:16], v[15:16], v[33:34]
	v_fma_f64 v[89:90], v[51:52], s[16:17], v[89:90]
	v_fma_f64 v[63:64], v[41:42], s[14:15], v[63:64]
	;; [unrolled: 1-line block ×3, first 2 shown]
	v_add_f64 v[51:52], v[25:26], -v[33:34]
	v_fma_f64 v[41:42], v[41:42], s[16:17], v[71:72]
	v_add_f64 v[25:26], v[85:86], v[45:46]
	v_add_f64 v[73:74], v[73:74], v[77:78]
	v_fma_f64 v[77:78], v[65:66], s[8:9], v[55:56]
	v_fma_f64 v[55:56], v[65:66], s[10:11], v[55:56]
	v_add_f64 v[23:24], v[23:24], v[35:36]
	v_add_f64 v[27:28], v[27:28], v[87:88]
	v_fma_f64 v[87:88], v[79:80], s[10:11], v[3:4]
	v_fma_f64 v[3:4], v[79:80], s[8:9], v[3:4]
	;; [unrolled: 1-line block ×13, first 2 shown]
	v_add_f64 v[21:22], v[21:22], v[51:52]
	v_add_f64 v[25:26], v[25:26], v[37:38]
	v_fma_f64 v[39:40], v[79:80], s[14:15], v[77:78]
	v_fma_f64 v[43:44], v[79:80], s[16:17], v[55:56]
	;; [unrolled: 1-line block ×4, first 2 shown]
	v_mul_f64 v[65:66], v[83:84], s[8:9]
	v_mul_f64 v[75:76], v[83:84], s[12:13]
	v_fma_f64 v[51:52], v[81:82], s[16:17], v[91:92]
	v_fma_f64 v[55:56], v[81:82], s[14:15], v[57:58]
	;; [unrolled: 1-line block ×3, first 2 shown]
	v_mul_f64 v[61:62], v[89:90], s[14:15]
	v_mul_f64 v[71:72], v[53:54], s[16:17]
	v_fma_f64 v[63:64], v[19:20], s[16:17], v[63:64]
	v_fma_f64 v[27:28], v[27:28], s[12:13], v[47:48]
	v_mul_f64 v[47:48], v[29:30], s[8:9]
	v_fma_f64 v[5:6], v[19:20], s[14:15], v[5:6]
	v_mul_f64 v[29:30], v[29:30], s[18:19]
	;; [unrolled: 2-line block ×3, first 2 shown]
	v_mul_f64 v[49:50], v[49:50], s[20:21]
	v_fma_f64 v[31:32], v[67:68], s[12:13], v[39:40]
	v_fma_f64 v[59:60], v[67:68], s[12:13], v[43:44]
	;; [unrolled: 1-line block ×4, first 2 shown]
	v_add_f64 v[3:4], v[13:14], v[23:24]
	v_add_f64 v[13:14], v[13:14], -v[23:24]
	v_fma_f64 v[35:36], v[73:74], s[12:13], v[51:52]
	v_fma_f64 v[55:56], v[73:74], s[12:13], v[55:56]
	;; [unrolled: 1-line block ×10, first 2 shown]
	v_add_f64 v[5:6], v[15:16], v[25:26]
	v_fma_f64 v[61:62], v[19:20], s[20:21], v[41:42]
	v_fma_f64 v[49:50], v[19:20], s[16:17], v[49:50]
	v_add_f64 v[15:16], v[15:16], -v[25:26]
	v_lshlrev_b32_e32 v65, 2, v8
	v_mov_b32_e32 v66, 0
	v_add_f64 v[23:24], v[33:34], v[39:40]
	v_add_f64 v[19:20], v[31:32], v[37:38]
	;; [unrolled: 1-line block ×3, first 2 shown]
	v_add_f64 v[27:28], v[31:32], -v[37:38]
	v_add_f64 v[25:26], v[51:52], v[53:54]
	v_add_f64 v[29:30], v[35:36], -v[43:44]
	v_add_f64 v[31:32], v[45:46], v[47:48]
	;; [unrolled: 2-line block ×3, first 2 shown]
	v_add_f64 v[39:40], v[59:60], v[61:62]
	v_add_f64 v[41:42], v[55:56], v[49:50]
	v_add_f64 v[37:38], v[51:52], -v[53:54]
	v_add_f64 v[43:44], v[45:46], -v[47:48]
	;; [unrolled: 1-line block ×5, first 2 shown]
	v_lshlrev_b64 v[51:52], 4, v[65:66]
	ds_write_b128 v7, v[3:6]
	ds_write_b128 v7, v[13:16] offset:80
	ds_write_b128 v7, v[19:22] offset:16
	;; [unrolled: 1-line block ×9, first 2 shown]
	v_add_co_u32 v51, s0, s6, v51
	v_add_co_ci_u32_e64 v52, s0, s7, v52, s0
	s_waitcnt lgkmcnt(0)
	s_barrier
	buffer_gl0_inv
	s_clause 0x2
	global_load_dwordx4 v[3:6], v[51:52], off
	global_load_dwordx4 v[13:16], v[51:52], off offset:16
	global_load_dwordx4 v[20:23], v[51:52], off offset:32
	v_lshlrev_b32_e32 v65, 2, v10
	v_lshl_add_u32 v19, v10, 4, v17
	v_lshlrev_b64 v[24:25], 4, v[65:66]
	v_add_co_u32 v40, s0, s6, v24
	v_add_co_ci_u32_e64 v41, s0, s7, v25, s0
	s_clause 0x4
	global_load_dwordx4 v[24:27], v[51:52], off offset:48
	global_load_dwordx4 v[28:31], v[40:41], off
	global_load_dwordx4 v[32:35], v[40:41], off offset:16
	global_load_dwordx4 v[36:39], v[40:41], off offset:32
	;; [unrolled: 1-line block ×3, first 2 shown]
	ds_read_b128 v[44:47], v1 offset:160
	ds_read_b128 v[48:51], v1 offset:320
	;; [unrolled: 1-line block ×3, first 2 shown]
	ds_read_b128 v[56:59], v18
	ds_read_b128 v[60:63], v1 offset:640
	ds_read_b128 v[64:67], v1 offset:240
	;; [unrolled: 1-line block ×5, first 2 shown]
	v_cmp_ne_u16_e64 s0, 0, v2
	s_waitcnt vmcnt(7) lgkmcnt(8)
	v_mul_f64 v[80:81], v[46:47], v[5:6]
	v_mul_f64 v[5:6], v[44:45], v[5:6]
	s_waitcnt vmcnt(6) lgkmcnt(7)
	v_mul_f64 v[82:83], v[50:51], v[15:16]
	v_mul_f64 v[15:16], v[48:49], v[15:16]
	;; [unrolled: 3-line block ×3, first 2 shown]
	s_waitcnt vmcnt(3) lgkmcnt(3)
	v_mul_f64 v[86:87], v[66:67], v[30:31]
	v_fma_f64 v[44:45], v[44:45], v[3:4], v[80:81]
	v_fma_f64 v[46:47], v[46:47], v[3:4], -v[5:6]
	ds_read_b128 v[3:6], v19
	v_mul_f64 v[80:81], v[62:63], v[26:27]
	v_mul_f64 v[26:27], v[60:61], v[26:27]
	v_fma_f64 v[48:49], v[48:49], v[13:14], v[82:83]
	v_fma_f64 v[13:14], v[50:51], v[13:14], -v[15:16]
	v_mul_f64 v[15:16], v[64:65], v[30:31]
	s_waitcnt vmcnt(2) lgkmcnt(3)
	v_mul_f64 v[30:31], v[70:71], v[34:35]
	v_mul_f64 v[34:35], v[68:69], v[34:35]
	s_waitcnt vmcnt(1) lgkmcnt(2)
	v_mul_f64 v[50:51], v[74:75], v[38:39]
	v_fma_f64 v[52:53], v[52:53], v[20:21], v[84:85]
	v_fma_f64 v[20:21], v[54:55], v[20:21], -v[22:23]
	s_waitcnt vmcnt(0) lgkmcnt(1)
	v_mul_f64 v[22:23], v[78:79], v[42:43]
	v_mul_f64 v[38:39], v[72:73], v[38:39]
	;; [unrolled: 1-line block ×3, first 2 shown]
	s_waitcnt lgkmcnt(0)
	s_barrier
	buffer_gl0_inv
	v_fma_f64 v[54:55], v[60:61], v[24:25], v[80:81]
	v_fma_f64 v[24:25], v[62:63], v[24:25], -v[26:27]
	v_fma_f64 v[26:27], v[64:65], v[28:29], v[86:87]
	v_add_f64 v[60:61], v[58:59], v[46:47]
	v_fma_f64 v[15:16], v[66:67], v[28:29], -v[15:16]
	v_fma_f64 v[28:29], v[68:69], v[32:33], v[30:31]
	v_fma_f64 v[30:31], v[70:71], v[32:33], -v[34:35]
	v_fma_f64 v[32:33], v[72:73], v[36:37], v[50:51]
	v_add_f64 v[70:71], v[56:57], v[44:45]
	v_add_f64 v[72:73], v[44:45], -v[48:49]
	v_fma_f64 v[22:23], v[76:77], v[40:41], v[22:23]
	v_fma_f64 v[34:35], v[74:75], v[36:37], -v[38:39]
	v_fma_f64 v[36:37], v[78:79], v[40:41], -v[42:43]
	v_add_f64 v[38:39], v[48:49], v[52:53]
	v_add_f64 v[42:43], v[13:14], v[20:21]
	v_add_f64 v[76:77], v[48:49], -v[44:45]
	v_add_f64 v[80:81], v[46:47], -v[13:14]
	;; [unrolled: 1-line block ×3, first 2 shown]
	v_add_f64 v[40:41], v[44:45], v[54:55]
	v_add_f64 v[50:51], v[46:47], v[24:25]
	v_add_f64 v[74:75], v[54:55], -v[52:53]
	v_add_f64 v[78:79], v[52:53], -v[54:55]
	;; [unrolled: 1-line block ×3, first 2 shown]
	v_add_f64 v[84:85], v[5:6], v[15:16]
	v_add_f64 v[86:87], v[3:4], v[26:27]
	;; [unrolled: 1-line block ×8, first 2 shown]
	v_fma_f64 v[38:39], v[38:39], -0.5, v[56:57]
	v_fma_f64 v[42:43], v[42:43], -0.5, v[58:59]
	v_add_f64 v[46:47], v[46:47], -v[24:25]
	v_add_f64 v[44:45], v[44:45], -v[54:55]
	v_add_f64 v[13:14], v[13:14], -v[20:21]
	v_add_f64 v[48:49], v[48:49], -v[52:53]
	v_add_f64 v[92:93], v[15:16], -v[30:31]
	v_add_f64 v[90:91], v[20:21], -v[24:25]
	v_fma_f64 v[40:41], v[40:41], -0.5, v[56:57]
	v_fma_f64 v[50:51], v[50:51], -0.5, v[58:59]
	v_add_f64 v[72:73], v[72:73], v[74:75]
	v_add_f64 v[74:75], v[22:23], -v[32:33]
	v_add_f64 v[76:77], v[76:77], v[78:79]
	v_add_f64 v[78:79], v[32:33], -v[22:23]
	v_add_f64 v[56:57], v[30:31], -v[15:16]
	v_fma_f64 v[62:63], v[62:63], -0.5, v[3:4]
	v_add_f64 v[80:81], v[80:81], v[82:83]
	v_add_f64 v[82:83], v[34:35], -v[36:37]
	v_fma_f64 v[3:4], v[64:65], -0.5, v[3:4]
	v_fma_f64 v[64:65], v[66:67], -0.5, v[5:6]
	;; [unrolled: 1-line block ×3, first 2 shown]
	v_add_f64 v[66:67], v[26:27], -v[28:29]
	v_add_f64 v[68:69], v[28:29], -v[26:27]
	v_add_f64 v[84:85], v[84:85], v[30:31]
	v_add_f64 v[15:16], v[15:16], -v[36:37]
	v_add_f64 v[26:27], v[26:27], -v[22:23]
	;; [unrolled: 1-line block ×4, first 2 shown]
	v_add_f64 v[86:87], v[86:87], v[28:29]
	v_add_f64 v[28:29], v[28:29], -v[32:33]
	v_add_f64 v[20:21], v[60:61], v[20:21]
	v_add_f64 v[52:53], v[70:71], v[52:53]
	v_fma_f64 v[60:61], v[46:47], s[8:9], v[38:39]
	v_fma_f64 v[70:71], v[44:45], s[10:11], v[42:43]
	;; [unrolled: 1-line block ×4, first 2 shown]
	v_add_f64 v[88:89], v[88:89], v[90:91]
	v_add_f64 v[56:57], v[56:57], v[82:83]
	;; [unrolled: 1-line block ×4, first 2 shown]
	v_fma_f64 v[74:75], v[13:14], s[10:11], v[40:41]
	v_fma_f64 v[78:79], v[48:49], s[8:9], v[50:51]
	;; [unrolled: 1-line block ×4, first 2 shown]
	v_add_f64 v[34:35], v[84:85], v[34:35]
	v_fma_f64 v[82:83], v[15:16], s[8:9], v[62:63]
	v_fma_f64 v[62:63], v[15:16], s[10:11], v[62:63]
	;; [unrolled: 1-line block ×3, first 2 shown]
	v_add_f64 v[58:59], v[92:93], v[58:59]
	v_fma_f64 v[90:91], v[30:31], s[10:11], v[3:4]
	v_fma_f64 v[92:93], v[28:29], s[8:9], v[5:6]
	;; [unrolled: 1-line block ×5, first 2 shown]
	v_add_f64 v[32:33], v[86:87], v[32:33]
	v_fma_f64 v[60:61], v[13:14], s[14:15], v[60:61]
	v_fma_f64 v[70:71], v[48:49], s[16:17], v[70:71]
	;; [unrolled: 1-line block ×16, first 2 shown]
	v_add_f64 v[5:6], v[20:21], v[24:25]
	v_add_f64 v[3:4], v[52:53], v[54:55]
	;; [unrolled: 1-line block ×3, first 2 shown]
	v_fma_f64 v[20:21], v[72:73], s[12:13], v[60:61]
	v_fma_f64 v[22:23], v[80:81], s[12:13], v[70:71]
	v_add_f64 v[15:16], v[34:35], v[36:37]
	v_fma_f64 v[24:25], v[72:73], s[12:13], v[38:39]
	v_fma_f64 v[26:27], v[80:81], s[12:13], v[42:43]
	;; [unrolled: 1-line block ×14, first 2 shown]
	ds_write_b128 v1, v[3:6]
	ds_write_b128 v1, v[20:23] offset:160
	ds_write_b128 v1, v[28:31] offset:320
	;; [unrolled: 1-line block ×4, first 2 shown]
	ds_write_b128 v19, v[13:16]
	ds_write_b128 v19, v[36:39] offset:160
	ds_write_b128 v19, v[44:47] offset:320
	;; [unrolled: 1-line block ×4, first 2 shown]
	s_waitcnt lgkmcnt(0)
	s_barrier
	buffer_gl0_inv
	ds_read_b128 v[4:7], v18
	v_sub_nc_u32_e32 v20, v17, v0
                                        ; implicit-def: $vgpr0_vgpr1
                                        ; implicit-def: $vgpr13_vgpr14
                                        ; implicit-def: $vgpr15_vgpr16
	s_and_saveexec_b32 s1, s0
	s_xor_b32 s0, exec_lo, s1
	s_cbranch_execz .LBB0_6
; %bb.5:
	v_mov_b32_e32 v0, 4
	v_lshlrev_b32_sdwa v0, v0, v2 dst_sel:DWORD dst_unused:UNUSED_PAD src0_sel:DWORD src1_sel:WORD_0
	global_load_dwordx4 v[21:24], v0, s[6:7] offset:640
	ds_read_b128 v[0:3], v20 offset:800
	s_waitcnt lgkmcnt(0)
	v_add_f64 v[13:14], v[4:5], -v[0:1]
	v_add_f64 v[15:16], v[6:7], v[2:3]
	v_add_f64 v[2:3], v[6:7], -v[2:3]
	v_add_f64 v[0:1], v[4:5], v[0:1]
	v_mul_f64 v[6:7], v[13:14], 0.5
	v_mul_f64 v[4:5], v[15:16], 0.5
	v_mul_f64 v[2:3], v[2:3], 0.5
	s_waitcnt vmcnt(0)
	v_mul_f64 v[13:14], v[6:7], v[23:24]
	v_fma_f64 v[15:16], v[4:5], v[23:24], v[2:3]
	v_fma_f64 v[2:3], v[4:5], v[23:24], -v[2:3]
	v_fma_f64 v[25:26], v[0:1], 0.5, v[13:14]
	v_fma_f64 v[0:1], v[0:1], 0.5, -v[13:14]
	v_fma_f64 v[15:16], -v[21:22], v[6:7], v[15:16]
	v_fma_f64 v[2:3], -v[21:22], v[6:7], v[2:3]
	v_fma_f64 v[13:14], v[4:5], v[21:22], v[25:26]
	v_fma_f64 v[0:1], -v[4:5], v[21:22], v[0:1]
                                        ; implicit-def: $vgpr4_vgpr5
.LBB0_6:
	s_andn2_saveexec_b32 s0, s0
	s_cbranch_execz .LBB0_8
; %bb.7:
	ds_read_b64 v[21:22], v17 offset:408
	s_waitcnt lgkmcnt(1)
	v_add_f64 v[13:14], v[4:5], v[6:7]
	v_add_f64 v[0:1], v[4:5], -v[6:7]
	v_mov_b32_e32 v15, 0
	v_mov_b32_e32 v16, 0
	;; [unrolled: 1-line block ×4, first 2 shown]
	s_waitcnt lgkmcnt(0)
	v_xor_b32_e32 v22, 0x80000000, v22
	ds_write_b64 v17, v[21:22] offset:408
.LBB0_8:
	s_or_b32 exec_lo, exec_lo, s0
	v_mov_b32_e32 v11, 0
	s_waitcnt lgkmcnt(0)
	v_lshlrev_b64 v[4:5], 4, v[10:11]
	v_mov_b32_e32 v9, v11
	v_lshlrev_b64 v[9:10], 4, v[8:9]
	v_add_co_u32 v4, s0, s6, v4
	v_add_co_ci_u32_e64 v5, s0, s7, v5, s0
	s_add_u32 s0, s6, 0x280
	s_addc_u32 s1, s7, 0
	v_add_co_u32 v9, s0, s0, v9
	global_load_dwordx4 v[4:7], v[4:5], off offset:640
	v_add_co_ci_u32_e64 v10, s0, s1, v10, s0
	global_load_dwordx4 v[21:24], v[9:10], off offset:160
	ds_write2_b64 v18, v[13:14], v[15:16] offset1:1
	ds_write_b128 v20, v[0:3] offset:800
	ds_read_b128 v[0:3], v19
	ds_read_b128 v[13:16], v20 offset:720
	global_load_dwordx4 v[25:28], v[9:10], off offset:240
	s_waitcnt lgkmcnt(0)
	v_add_f64 v[29:30], v[0:1], -v[13:14]
	v_add_f64 v[31:32], v[2:3], v[15:16]
	v_add_f64 v[2:3], v[2:3], -v[15:16]
	v_add_f64 v[0:1], v[0:1], v[13:14]
	v_mul_f64 v[15:16], v[29:30], 0.5
	v_mul_f64 v[29:30], v[31:32], 0.5
	;; [unrolled: 1-line block ×3, first 2 shown]
	s_waitcnt vmcnt(2)
	v_mul_f64 v[13:14], v[15:16], v[6:7]
	v_fma_f64 v[31:32], v[29:30], v[6:7], v[2:3]
	v_fma_f64 v[2:3], v[29:30], v[6:7], -v[2:3]
	v_fma_f64 v[6:7], v[0:1], 0.5, v[13:14]
	v_fma_f64 v[0:1], v[0:1], 0.5, -v[13:14]
	v_fma_f64 v[13:14], -v[4:5], v[15:16], v[31:32]
	v_fma_f64 v[2:3], -v[4:5], v[15:16], v[2:3]
	v_fma_f64 v[6:7], v[29:30], v[4:5], v[6:7]
	v_fma_f64 v[0:1], -v[29:30], v[4:5], v[0:1]
	ds_write2_b64 v19, v[6:7], v[13:14] offset1:1
	ds_write_b128 v20, v[0:3] offset:720
	ds_read_b128 v[0:3], v18 offset:160
	ds_read_b128 v[4:7], v20 offset:640
	global_load_dwordx4 v[13:16], v[9:10], off offset:320
	s_waitcnt lgkmcnt(0)
	v_add_f64 v[9:10], v[0:1], -v[4:5]
	v_add_f64 v[29:30], v[2:3], v[6:7]
	v_add_f64 v[2:3], v[2:3], -v[6:7]
	v_add_f64 v[0:1], v[0:1], v[4:5]
	v_mul_f64 v[6:7], v[9:10], 0.5
	v_mul_f64 v[9:10], v[29:30], 0.5
	;; [unrolled: 1-line block ×3, first 2 shown]
	s_waitcnt vmcnt(2)
	v_mul_f64 v[4:5], v[6:7], v[23:24]
	v_fma_f64 v[29:30], v[9:10], v[23:24], v[2:3]
	v_fma_f64 v[2:3], v[9:10], v[23:24], -v[2:3]
	v_fma_f64 v[23:24], v[0:1], 0.5, v[4:5]
	v_fma_f64 v[0:1], v[0:1], 0.5, -v[4:5]
	v_fma_f64 v[4:5], -v[21:22], v[6:7], v[29:30]
	v_fma_f64 v[2:3], -v[21:22], v[6:7], v[2:3]
	v_fma_f64 v[6:7], v[9:10], v[21:22], v[23:24]
	v_fma_f64 v[0:1], -v[9:10], v[21:22], v[0:1]
	ds_write2_b64 v18, v[6:7], v[4:5] offset0:20 offset1:21
	ds_write_b128 v20, v[0:3] offset:640
	ds_read_b128 v[0:3], v18 offset:240
	ds_read_b128 v[4:7], v20 offset:560
	s_waitcnt lgkmcnt(0)
	v_add_f64 v[9:10], v[0:1], -v[4:5]
	v_add_f64 v[21:22], v[2:3], v[6:7]
	v_add_f64 v[2:3], v[2:3], -v[6:7]
	v_add_f64 v[0:1], v[0:1], v[4:5]
	v_mul_f64 v[6:7], v[9:10], 0.5
	v_mul_f64 v[9:10], v[21:22], 0.5
	;; [unrolled: 1-line block ×3, first 2 shown]
	s_waitcnt vmcnt(1)
	v_mul_f64 v[4:5], v[6:7], v[27:28]
	v_fma_f64 v[21:22], v[9:10], v[27:28], v[2:3]
	v_fma_f64 v[2:3], v[9:10], v[27:28], -v[2:3]
	v_fma_f64 v[23:24], v[0:1], 0.5, v[4:5]
	v_fma_f64 v[0:1], v[0:1], 0.5, -v[4:5]
	v_fma_f64 v[4:5], -v[25:26], v[6:7], v[21:22]
	v_fma_f64 v[2:3], -v[25:26], v[6:7], v[2:3]
	v_fma_f64 v[6:7], v[9:10], v[25:26], v[23:24]
	v_fma_f64 v[0:1], -v[9:10], v[25:26], v[0:1]
	ds_write2_b64 v18, v[6:7], v[4:5] offset0:30 offset1:31
	ds_write_b128 v20, v[0:3] offset:560
	ds_read_b128 v[0:3], v18 offset:320
	ds_read_b128 v[4:7], v20 offset:480
	s_waitcnt lgkmcnt(0)
	v_add_f64 v[9:10], v[0:1], -v[4:5]
	v_add_f64 v[21:22], v[2:3], v[6:7]
	v_add_f64 v[2:3], v[2:3], -v[6:7]
	v_add_f64 v[0:1], v[0:1], v[4:5]
	v_mul_f64 v[6:7], v[9:10], 0.5
	v_mul_f64 v[9:10], v[21:22], 0.5
	;; [unrolled: 1-line block ×3, first 2 shown]
	s_waitcnt vmcnt(0)
	v_mul_f64 v[4:5], v[6:7], v[15:16]
	v_fma_f64 v[21:22], v[9:10], v[15:16], v[2:3]
	v_fma_f64 v[2:3], v[9:10], v[15:16], -v[2:3]
	v_fma_f64 v[15:16], v[0:1], 0.5, v[4:5]
	v_fma_f64 v[0:1], v[0:1], 0.5, -v[4:5]
	v_fma_f64 v[4:5], -v[13:14], v[6:7], v[21:22]
	v_fma_f64 v[2:3], -v[13:14], v[6:7], v[2:3]
	v_fma_f64 v[6:7], v[9:10], v[13:14], v[15:16]
	v_fma_f64 v[0:1], -v[9:10], v[13:14], v[0:1]
	ds_write2_b64 v18, v[6:7], v[4:5] offset0:40 offset1:41
	ds_write_b128 v20, v[0:3] offset:480
	s_waitcnt lgkmcnt(0)
	s_barrier
	buffer_gl0_inv
	s_and_saveexec_b32 s0, vcc_lo
	s_cbranch_execz .LBB0_11
; %bb.9:
	v_mad_u64_u32 v[0:1], null, s2, v12, 0
	s_load_dwordx2 s[0:1], s[4:5], 0x58
	v_add_nc_u32_e32 v10, 5, v8
	v_mov_b32_e32 v9, v11
	v_lshlrev_b64 v[32:33], 4, v[10:11]
	v_mad_u64_u32 v[1:2], null, s3, v12, v[1:2]
	v_lshl_add_u32 v2, v8, 4, v17
	v_add_nc_u32_e32 v10, 10, v8
	v_lshlrev_b64 v[34:35], 4, v[8:9]
	ds_read_b128 v[3:6], v2
	ds_read_b128 v[12:15], v2 offset:80
	v_lshlrev_b64 v[0:1], 4, v[0:1]
	v_lshlrev_b64 v[36:37], 4, v[10:11]
	v_add_nc_u32_e32 v10, 15, v8
	ds_read_b128 v[16:19], v2 offset:160
	ds_read_b128 v[20:23], v2 offset:240
	;; [unrolled: 1-line block ×4, first 2 shown]
	s_waitcnt lgkmcnt(0)
	v_add_co_u32 v0, vcc_lo, s0, v0
	v_lshlrev_b64 v[38:39], 4, v[10:11]
	v_add_nc_u32_e32 v10, 20, v8
	v_add_co_ci_u32_e32 v1, vcc_lo, s1, v1, vcc_lo
	v_add_co_u32 v9, vcc_lo, v0, v34
	v_lshlrev_b64 v[40:41], 4, v[10:11]
	v_add_co_ci_u32_e32 v10, vcc_lo, v1, v35, vcc_lo
	v_add_co_u32 v32, vcc_lo, v0, v32
	v_add_co_ci_u32_e32 v33, vcc_lo, v1, v33, vcc_lo
	global_store_dwordx4 v[9:10], v[3:6], off
	global_store_dwordx4 v[32:33], v[12:15], off
	v_add_nc_u32_e32 v10, 25, v8
	v_add_co_u32 v34, vcc_lo, v0, v36
	v_add_co_ci_u32_e32 v35, vcc_lo, v1, v37, vcc_lo
	v_add_co_u32 v3, vcc_lo, v0, v38
	v_lshlrev_b64 v[5:6], 4, v[10:11]
	v_add_nc_u32_e32 v10, 30, v8
	v_add_co_ci_u32_e32 v4, vcc_lo, v1, v39, vcc_lo
	v_add_co_u32 v12, vcc_lo, v0, v40
	v_add_co_ci_u32_e32 v13, vcc_lo, v1, v41, vcc_lo
	v_add_co_u32 v5, vcc_lo, v0, v5
	v_lshlrev_b64 v[14:15], 4, v[10:11]
	v_add_nc_u32_e32 v10, 35, v8
	v_add_co_ci_u32_e32 v6, vcc_lo, v1, v6, vcc_lo
	global_store_dwordx4 v[34:35], v[16:19], off
	global_store_dwordx4 v[3:4], v[20:23], off
	;; [unrolled: 1-line block ×4, first 2 shown]
	v_lshlrev_b64 v[26:27], 4, v[10:11]
	v_add_nc_u32_e32 v10, 40, v8
	v_add_co_u32 v24, vcc_lo, v0, v14
	v_add_co_ci_u32_e32 v25, vcc_lo, v1, v15, vcc_lo
	ds_read_b128 v[3:6], v2 offset:480
	ds_read_b128 v[12:15], v2 offset:560
	;; [unrolled: 1-line block ×4, first 2 shown]
	v_lshlrev_b64 v[28:29], 4, v[10:11]
	v_add_nc_u32_e32 v10, 45, v8
	v_add_co_u32 v26, vcc_lo, v0, v26
	v_add_co_ci_u32_e32 v27, vcc_lo, v1, v27, vcc_lo
	v_lshlrev_b64 v[9:10], 4, v[10:11]
	v_add_co_u32 v28, vcc_lo, v0, v28
	v_add_co_ci_u32_e32 v29, vcc_lo, v1, v29, vcc_lo
	v_add_co_u32 v9, vcc_lo, v0, v9
	v_add_co_ci_u32_e32 v10, vcc_lo, v1, v10, vcc_lo
	v_cmp_eq_u32_e32 vcc_lo, 4, v8
	s_waitcnt lgkmcnt(3)
	global_store_dwordx4 v[24:25], v[3:6], off
	s_waitcnt lgkmcnt(2)
	global_store_dwordx4 v[26:27], v[12:15], off
	;; [unrolled: 2-line block ×4, first 2 shown]
	s_and_b32 exec_lo, exec_lo, vcc_lo
	s_cbranch_execz .LBB0_11
; %bb.10:
	ds_read_b128 v[2:5], v2 offset:736
	s_waitcnt lgkmcnt(0)
	global_store_dwordx4 v[0:1], v[2:5], off offset:800
.LBB0_11:
	s_endpgm
	.section	.rodata,"a",@progbits
	.p2align	6, 0x0
	.amdhsa_kernel fft_rtc_back_len50_factors_10_5_wgs_125_tpt_5_halfLds_dim1_dp_op_CI_CI_unitstride_sbrr_R2C_dirReg
		.amdhsa_group_segment_fixed_size 0
		.amdhsa_private_segment_fixed_size 0
		.amdhsa_kernarg_size 96
		.amdhsa_user_sgpr_count 6
		.amdhsa_user_sgpr_private_segment_buffer 1
		.amdhsa_user_sgpr_dispatch_ptr 0
		.amdhsa_user_sgpr_queue_ptr 0
		.amdhsa_user_sgpr_kernarg_segment_ptr 1
		.amdhsa_user_sgpr_dispatch_id 0
		.amdhsa_user_sgpr_flat_scratch_init 0
		.amdhsa_user_sgpr_private_segment_size 0
		.amdhsa_wavefront_size32 1
		.amdhsa_uses_dynamic_stack 0
		.amdhsa_system_sgpr_private_segment_wavefront_offset 0
		.amdhsa_system_sgpr_workgroup_id_x 1
		.amdhsa_system_sgpr_workgroup_id_y 0
		.amdhsa_system_sgpr_workgroup_id_z 0
		.amdhsa_system_sgpr_workgroup_info 0
		.amdhsa_system_vgpr_workitem_id 0
		.amdhsa_next_free_vgpr 94
		.amdhsa_next_free_sgpr 22
		.amdhsa_reserve_vcc 1
		.amdhsa_reserve_flat_scratch 0
		.amdhsa_float_round_mode_32 0
		.amdhsa_float_round_mode_16_64 0
		.amdhsa_float_denorm_mode_32 3
		.amdhsa_float_denorm_mode_16_64 3
		.amdhsa_dx10_clamp 1
		.amdhsa_ieee_mode 1
		.amdhsa_fp16_overflow 0
		.amdhsa_workgroup_processor_mode 1
		.amdhsa_memory_ordered 1
		.amdhsa_forward_progress 0
		.amdhsa_shared_vgpr_count 0
		.amdhsa_exception_fp_ieee_invalid_op 0
		.amdhsa_exception_fp_denorm_src 0
		.amdhsa_exception_fp_ieee_div_zero 0
		.amdhsa_exception_fp_ieee_overflow 0
		.amdhsa_exception_fp_ieee_underflow 0
		.amdhsa_exception_fp_ieee_inexact 0
		.amdhsa_exception_int_div_zero 0
	.end_amdhsa_kernel
	.text
.Lfunc_end0:
	.size	fft_rtc_back_len50_factors_10_5_wgs_125_tpt_5_halfLds_dim1_dp_op_CI_CI_unitstride_sbrr_R2C_dirReg, .Lfunc_end0-fft_rtc_back_len50_factors_10_5_wgs_125_tpt_5_halfLds_dim1_dp_op_CI_CI_unitstride_sbrr_R2C_dirReg
                                        ; -- End function
	.section	.AMDGPU.csdata,"",@progbits
; Kernel info:
; codeLenInByte = 5188
; NumSgprs: 24
; NumVgprs: 94
; ScratchSize: 0
; MemoryBound: 0
; FloatMode: 240
; IeeeMode: 1
; LDSByteSize: 0 bytes/workgroup (compile time only)
; SGPRBlocks: 2
; VGPRBlocks: 11
; NumSGPRsForWavesPerEU: 24
; NumVGPRsForWavesPerEU: 94
; Occupancy: 10
; WaveLimiterHint : 1
; COMPUTE_PGM_RSRC2:SCRATCH_EN: 0
; COMPUTE_PGM_RSRC2:USER_SGPR: 6
; COMPUTE_PGM_RSRC2:TRAP_HANDLER: 0
; COMPUTE_PGM_RSRC2:TGID_X_EN: 1
; COMPUTE_PGM_RSRC2:TGID_Y_EN: 0
; COMPUTE_PGM_RSRC2:TGID_Z_EN: 0
; COMPUTE_PGM_RSRC2:TIDIG_COMP_CNT: 0
	.text
	.p2alignl 6, 3214868480
	.fill 48, 4, 3214868480
	.type	__hip_cuid_9894f6e78c12ee4b,@object ; @__hip_cuid_9894f6e78c12ee4b
	.section	.bss,"aw",@nobits
	.globl	__hip_cuid_9894f6e78c12ee4b
__hip_cuid_9894f6e78c12ee4b:
	.byte	0                               ; 0x0
	.size	__hip_cuid_9894f6e78c12ee4b, 1

	.ident	"AMD clang version 19.0.0git (https://github.com/RadeonOpenCompute/llvm-project roc-6.4.0 25133 c7fe45cf4b819c5991fe208aaa96edf142730f1d)"
	.section	".note.GNU-stack","",@progbits
	.addrsig
	.addrsig_sym __hip_cuid_9894f6e78c12ee4b
	.amdgpu_metadata
---
amdhsa.kernels:
  - .args:
      - .actual_access:  read_only
        .address_space:  global
        .offset:         0
        .size:           8
        .value_kind:     global_buffer
      - .actual_access:  read_only
        .address_space:  global
        .offset:         8
        .size:           8
        .value_kind:     global_buffer
      - .actual_access:  read_only
        .address_space:  global
        .offset:         16
        .size:           8
        .value_kind:     global_buffer
      - .actual_access:  read_only
        .address_space:  global
        .offset:         24
        .size:           8
        .value_kind:     global_buffer
      - .offset:         32
        .size:           8
        .value_kind:     by_value
      - .actual_access:  read_only
        .address_space:  global
        .offset:         40
        .size:           8
        .value_kind:     global_buffer
      - .actual_access:  read_only
        .address_space:  global
        .offset:         48
        .size:           8
        .value_kind:     global_buffer
      - .offset:         56
        .size:           4
        .value_kind:     by_value
      - .actual_access:  read_only
        .address_space:  global
        .offset:         64
        .size:           8
        .value_kind:     global_buffer
      - .actual_access:  read_only
        .address_space:  global
        .offset:         72
        .size:           8
        .value_kind:     global_buffer
      - .actual_access:  read_only
        .address_space:  global
        .offset:         80
        .size:           8
        .value_kind:     global_buffer
      - .actual_access:  write_only
        .address_space:  global
        .offset:         88
        .size:           8
        .value_kind:     global_buffer
    .group_segment_fixed_size: 0
    .kernarg_segment_align: 8
    .kernarg_segment_size: 96
    .language:       OpenCL C
    .language_version:
      - 2
      - 0
    .max_flat_workgroup_size: 125
    .name:           fft_rtc_back_len50_factors_10_5_wgs_125_tpt_5_halfLds_dim1_dp_op_CI_CI_unitstride_sbrr_R2C_dirReg
    .private_segment_fixed_size: 0
    .sgpr_count:     24
    .sgpr_spill_count: 0
    .symbol:         fft_rtc_back_len50_factors_10_5_wgs_125_tpt_5_halfLds_dim1_dp_op_CI_CI_unitstride_sbrr_R2C_dirReg.kd
    .uniform_work_group_size: 1
    .uses_dynamic_stack: false
    .vgpr_count:     94
    .vgpr_spill_count: 0
    .wavefront_size: 32
    .workgroup_processor_mode: 1
amdhsa.target:   amdgcn-amd-amdhsa--gfx1030
amdhsa.version:
  - 1
  - 2
...

	.end_amdgpu_metadata
